;; amdgpu-corpus repo=zjin-lcf/HeCBench kind=compiled arch=gfx906 opt=O3
	.amdgcn_target "amdgcn-amd-amdhsa--gfx906"
	.amdhsa_code_object_version 6
	.text
	.protected	_Z6cmpfhdPKfS0_PfS1_S0_S0_S0_ii ; -- Begin function _Z6cmpfhdPKfS0_PfS1_S0_S0_S0_ii
	.globl	_Z6cmpfhdPKfS0_PfS1_S0_S0_S0_ii
	.p2align	8
	.type	_Z6cmpfhdPKfS0_PfS1_S0_S0_S0_ii,@function
_Z6cmpfhdPKfS0_PfS1_S0_S0_S0_ii:        ; @_Z6cmpfhdPKfS0_PfS1_S0_S0_S0_ii
; %bb.0:
	s_load_dword s0, s[4:5], 0x4c
	s_load_dwordx2 s[8:9], s[4:5], 0x38
	s_waitcnt lgkmcnt(0)
	s_and_b32 s0, s0, 0xffff
	s_mul_i32 s6, s6, s0
	v_add_u32_e32 v0, s6, v0
	v_cmp_gt_i32_e32 vcc, s8, v0
	s_and_saveexec_b64 s[0:1], vcc
	s_cbranch_execz .LBB0_5
; %bb.1:
	s_load_dwordx4 s[0:3], s[4:5], 0x10
	v_ashrrev_i32_e32 v1, 31, v0
	v_lshlrev_b64 v[4:5], 2, v[0:1]
	s_cmp_lt_i32 s9, 1
	s_waitcnt lgkmcnt(0)
	v_mov_b32_e32 v1, s1
	v_add_co_u32_e32 v0, vcc, s0, v4
	v_addc_co_u32_e32 v1, vcc, v1, v5, vcc
	v_mov_b32_e32 v3, s3
	v_add_co_u32_e32 v2, vcc, s2, v4
	v_addc_co_u32_e32 v3, vcc, v3, v5, vcc
	global_load_dword v6, v[0:1], off
	global_load_dword v7, v[2:3], off
	s_cbranch_scc1 .LBB0_4
; %bb.2:
	s_load_dwordx4 s[0:3], s[4:5], 0x20
	s_load_dwordx2 s[6:7], s[4:5], 0x30
	s_waitcnt lgkmcnt(0)
	v_mov_b32_e32 v9, s1
	v_add_co_u32_e32 v8, vcc, s0, v4
	v_addc_co_u32_e32 v9, vcc, v9, v5, vcc
	global_load_dword v8, v[8:9], off
	v_mov_b32_e32 v10, s3
	v_add_co_u32_e32 v9, vcc, s2, v4
	v_addc_co_u32_e32 v10, vcc, v10, v5, vcc
	global_load_dword v9, v[9:10], off
	;; [unrolled: 4-line block ×3, first 2 shown]
	s_load_dwordx4 s[0:3], s[4:5], 0x0
	s_getpc_b64 s[4:5]
	s_add_u32 s4, s4, k@rel32@lo+4
	s_addc_u32 s5, s5, k@rel32@hi+12
.LBB0_3:                                ; =>This Inner Loop Header: Depth=1
	s_load_dwordx2 s[6:7], s[4:5], 0x0
	s_load_dword s8, s[4:5], 0x8
	s_waitcnt lgkmcnt(0)
	s_load_dword s10, s[0:1], 0x0
	s_load_dword s11, s[2:3], 0x0
	s_add_i32 s9, s9, -1
	s_waitcnt vmcnt(1)
	v_mul_f32_e32 v5, s7, v9
	v_fmac_f32_e32 v5, s6, v8
	s_waitcnt vmcnt(0)
	v_fmac_f32_e32 v5, s8, v4
	v_mul_f32_e32 v5, 0x40c90fdb, v5
	v_mul_f32_e32 v5, 0.15915494, v5
	s_add_u32 s4, s4, 12
	v_sin_f32_e32 v10, v5
	s_addc_u32 s5, s5, 0
	v_cos_f32_e32 v5, v5
	s_add_u32 s0, s0, 4
	s_addc_u32 s1, s1, 0
	s_add_u32 s2, s2, 4
	s_waitcnt lgkmcnt(0)
	v_mul_f32_e32 v11, s11, v10
	v_mul_f32_e32 v10, s10, v10
	s_addc_u32 s3, s3, 0
	v_fma_f32 v11, s10, v5, -v11
	v_fmac_f32_e32 v10, s11, v5
	s_cmp_eq_u32 s9, 0
	v_add_f32_e32 v6, v6, v11
	v_add_f32_e32 v7, v7, v10
	s_cbranch_scc0 .LBB0_3
.LBB0_4:
	s_waitcnt vmcnt(1)
	global_store_dword v[0:1], v6, off
	s_waitcnt vmcnt(1)
	global_store_dword v[2:3], v7, off
.LBB0_5:
	s_endpgm
	.section	.rodata,"a",@progbits
	.p2align	6, 0x0
	.amdhsa_kernel _Z6cmpfhdPKfS0_PfS1_S0_S0_S0_ii
		.amdhsa_group_segment_fixed_size 0
		.amdhsa_private_segment_fixed_size 0
		.amdhsa_kernarg_size 320
		.amdhsa_user_sgpr_count 6
		.amdhsa_user_sgpr_private_segment_buffer 1
		.amdhsa_user_sgpr_dispatch_ptr 0
		.amdhsa_user_sgpr_queue_ptr 0
		.amdhsa_user_sgpr_kernarg_segment_ptr 1
		.amdhsa_user_sgpr_dispatch_id 0
		.amdhsa_user_sgpr_flat_scratch_init 0
		.amdhsa_user_sgpr_private_segment_size 0
		.amdhsa_uses_dynamic_stack 0
		.amdhsa_system_sgpr_private_segment_wavefront_offset 0
		.amdhsa_system_sgpr_workgroup_id_x 1
		.amdhsa_system_sgpr_workgroup_id_y 0
		.amdhsa_system_sgpr_workgroup_id_z 0
		.amdhsa_system_sgpr_workgroup_info 0
		.amdhsa_system_vgpr_workitem_id 0
		.amdhsa_next_free_vgpr 12
		.amdhsa_next_free_sgpr 12
		.amdhsa_reserve_vcc 1
		.amdhsa_reserve_flat_scratch 0
		.amdhsa_float_round_mode_32 0
		.amdhsa_float_round_mode_16_64 0
		.amdhsa_float_denorm_mode_32 3
		.amdhsa_float_denorm_mode_16_64 3
		.amdhsa_dx10_clamp 1
		.amdhsa_ieee_mode 1
		.amdhsa_fp16_overflow 0
		.amdhsa_exception_fp_ieee_invalid_op 0
		.amdhsa_exception_fp_denorm_src 0
		.amdhsa_exception_fp_ieee_div_zero 0
		.amdhsa_exception_fp_ieee_overflow 0
		.amdhsa_exception_fp_ieee_underflow 0
		.amdhsa_exception_fp_ieee_inexact 0
		.amdhsa_exception_int_div_zero 0
	.end_amdhsa_kernel
	.text
.Lfunc_end0:
	.size	_Z6cmpfhdPKfS0_PfS1_S0_S0_S0_ii, .Lfunc_end0-_Z6cmpfhdPKfS0_PfS1_S0_S0_S0_ii
                                        ; -- End function
	.set _Z6cmpfhdPKfS0_PfS1_S0_S0_S0_ii.num_vgpr, 12
	.set _Z6cmpfhdPKfS0_PfS1_S0_S0_S0_ii.num_agpr, 0
	.set _Z6cmpfhdPKfS0_PfS1_S0_S0_S0_ii.numbered_sgpr, 12
	.set _Z6cmpfhdPKfS0_PfS1_S0_S0_S0_ii.num_named_barrier, 0
	.set _Z6cmpfhdPKfS0_PfS1_S0_S0_S0_ii.private_seg_size, 0
	.set _Z6cmpfhdPKfS0_PfS1_S0_S0_S0_ii.uses_vcc, 1
	.set _Z6cmpfhdPKfS0_PfS1_S0_S0_S0_ii.uses_flat_scratch, 0
	.set _Z6cmpfhdPKfS0_PfS1_S0_S0_S0_ii.has_dyn_sized_stack, 0
	.set _Z6cmpfhdPKfS0_PfS1_S0_S0_S0_ii.has_recursion, 0
	.set _Z6cmpfhdPKfS0_PfS1_S0_S0_S0_ii.has_indirect_call, 0
	.section	.AMDGPU.csdata,"",@progbits
; Kernel info:
; codeLenInByte = 400
; TotalNumSgprs: 16
; NumVgprs: 12
; ScratchSize: 0
; MemoryBound: 0
; FloatMode: 240
; IeeeMode: 1
; LDSByteSize: 0 bytes/workgroup (compile time only)
; SGPRBlocks: 1
; VGPRBlocks: 2
; NumSGPRsForWavesPerEU: 16
; NumVGPRsForWavesPerEU: 12
; Occupancy: 10
; WaveLimiterHint : 0
; COMPUTE_PGM_RSRC2:SCRATCH_EN: 0
; COMPUTE_PGM_RSRC2:USER_SGPR: 6
; COMPUTE_PGM_RSRC2:TRAP_HANDLER: 0
; COMPUTE_PGM_RSRC2:TGID_X_EN: 1
; COMPUTE_PGM_RSRC2:TGID_Y_EN: 0
; COMPUTE_PGM_RSRC2:TGID_Z_EN: 0
; COMPUTE_PGM_RSRC2:TIDIG_COMP_CNT: 0
	.section	.AMDGPU.gpr_maximums,"",@progbits
	.set amdgpu.max_num_vgpr, 0
	.set amdgpu.max_num_agpr, 0
	.set amdgpu.max_num_sgpr, 0
	.section	.AMDGPU.csdata,"",@progbits
	.protected	k                       ; @k
	.type	k,@object
	.section	.rodata,"a",@progbits
	.globl	k
	.p2align	4, 0x0
k:
	.zero	49152
	.size	k, 49152

	.type	__hip_cuid_2c280ac238a61bfc,@object ; @__hip_cuid_2c280ac238a61bfc
	.section	.bss,"aw",@nobits
	.globl	__hip_cuid_2c280ac238a61bfc
__hip_cuid_2c280ac238a61bfc:
	.byte	0                               ; 0x0
	.size	__hip_cuid_2c280ac238a61bfc, 1

	.ident	"AMD clang version 22.0.0git (https://github.com/RadeonOpenCompute/llvm-project roc-7.2.4 26084 f58b06dce1f9c15707c5f808fd002e18c2accf7e)"
	.section	".note.GNU-stack","",@progbits
	.addrsig
	.addrsig_sym k
	.addrsig_sym __hip_cuid_2c280ac238a61bfc
	.amdgpu_metadata
---
amdhsa.kernels:
  - .args:
      - .actual_access:  read_only
        .address_space:  global
        .offset:         0
        .size:           8
        .value_kind:     global_buffer
      - .actual_access:  read_only
        .address_space:  global
        .offset:         8
        .size:           8
        .value_kind:     global_buffer
      - .address_space:  global
        .offset:         16
        .size:           8
        .value_kind:     global_buffer
      - .address_space:  global
        .offset:         24
        .size:           8
        .value_kind:     global_buffer
      - .actual_access:  read_only
        .address_space:  global
        .offset:         32
        .size:           8
        .value_kind:     global_buffer
      - .actual_access:  read_only
        .address_space:  global
        .offset:         40
        .size:           8
        .value_kind:     global_buffer
      - .actual_access:  read_only
        .address_space:  global
        .offset:         48
        .size:           8
        .value_kind:     global_buffer
      - .offset:         56
        .size:           4
        .value_kind:     by_value
      - .offset:         60
        .size:           4
        .value_kind:     by_value
      - .offset:         64
        .size:           4
        .value_kind:     hidden_block_count_x
      - .offset:         68
        .size:           4
        .value_kind:     hidden_block_count_y
      - .offset:         72
        .size:           4
        .value_kind:     hidden_block_count_z
      - .offset:         76
        .size:           2
        .value_kind:     hidden_group_size_x
      - .offset:         78
        .size:           2
        .value_kind:     hidden_group_size_y
      - .offset:         80
        .size:           2
        .value_kind:     hidden_group_size_z
      - .offset:         82
        .size:           2
        .value_kind:     hidden_remainder_x
      - .offset:         84
        .size:           2
        .value_kind:     hidden_remainder_y
      - .offset:         86
        .size:           2
        .value_kind:     hidden_remainder_z
      - .offset:         104
        .size:           8
        .value_kind:     hidden_global_offset_x
      - .offset:         112
        .size:           8
        .value_kind:     hidden_global_offset_y
      - .offset:         120
        .size:           8
        .value_kind:     hidden_global_offset_z
      - .offset:         128
        .size:           2
        .value_kind:     hidden_grid_dims
    .group_segment_fixed_size: 0
    .kernarg_segment_align: 8
    .kernarg_segment_size: 320
    .language:       OpenCL C
    .language_version:
      - 2
      - 0
    .max_flat_workgroup_size: 1024
    .name:           _Z6cmpfhdPKfS0_PfS1_S0_S0_S0_ii
    .private_segment_fixed_size: 0
    .sgpr_count:     16
    .sgpr_spill_count: 0
    .symbol:         _Z6cmpfhdPKfS0_PfS1_S0_S0_S0_ii.kd
    .uniform_work_group_size: 1
    .uses_dynamic_stack: false
    .vgpr_count:     12
    .vgpr_spill_count: 0
    .wavefront_size: 64
amdhsa.target:   amdgcn-amd-amdhsa--gfx906
amdhsa.version:
  - 1
  - 2
...

	.end_amdgpu_metadata
